;; amdgpu-corpus repo=ROCm/rocFFT kind=compiled arch=gfx906 opt=O3
	.text
	.amdgcn_target "amdgcn-amd-amdhsa--gfx906"
	.amdhsa_code_object_version 6
	.protected	fft_rtc_fwd_len1404_factors_2_2_3_13_3_3_wgs_117_tpt_117_halfLds_dp_ip_CI_unitstride_sbrr_dirReg ; -- Begin function fft_rtc_fwd_len1404_factors_2_2_3_13_3_3_wgs_117_tpt_117_halfLds_dp_ip_CI_unitstride_sbrr_dirReg
	.globl	fft_rtc_fwd_len1404_factors_2_2_3_13_3_3_wgs_117_tpt_117_halfLds_dp_ip_CI_unitstride_sbrr_dirReg
	.p2align	8
	.type	fft_rtc_fwd_len1404_factors_2_2_3_13_3_3_wgs_117_tpt_117_halfLds_dp_ip_CI_unitstride_sbrr_dirReg,@function
fft_rtc_fwd_len1404_factors_2_2_3_13_3_3_wgs_117_tpt_117_halfLds_dp_ip_CI_unitstride_sbrr_dirReg: ; @fft_rtc_fwd_len1404_factors_2_2_3_13_3_3_wgs_117_tpt_117_halfLds_dp_ip_CI_unitstride_sbrr_dirReg
; %bb.0:
	s_load_dwordx2 s[2:3], s[4:5], 0x50
	s_load_dwordx4 s[8:11], s[4:5], 0x0
	s_load_dwordx2 s[12:13], s[4:5], 0x18
	v_mul_u32_u24_e32 v1, 0x231, v0
	v_add_u32_sdwa v5, s6, v1 dst_sel:DWORD dst_unused:UNUSED_PAD src0_sel:DWORD src1_sel:WORD_1
	v_mov_b32_e32 v3, 0
	s_waitcnt lgkmcnt(0)
	v_cmp_lt_u64_e64 s[0:1], s[10:11], 2
	v_mov_b32_e32 v1, 0
	v_mov_b32_e32 v6, v3
	s_and_b64 vcc, exec, s[0:1]
	v_mov_b32_e32 v2, 0
	s_cbranch_vccnz .LBB0_8
; %bb.1:
	s_load_dwordx2 s[0:1], s[4:5], 0x10
	s_add_u32 s6, s12, 8
	s_addc_u32 s7, s13, 0
	v_mov_b32_e32 v1, 0
	v_mov_b32_e32 v2, 0
	s_waitcnt lgkmcnt(0)
	s_add_u32 s14, s0, 8
	s_addc_u32 s15, s1, 0
	s_mov_b64 s[16:17], 1
.LBB0_2:                                ; =>This Inner Loop Header: Depth=1
	s_load_dwordx2 s[18:19], s[14:15], 0x0
                                        ; implicit-def: $vgpr7_vgpr8
	s_waitcnt lgkmcnt(0)
	v_or_b32_e32 v4, s19, v6
	v_cmp_ne_u64_e32 vcc, 0, v[3:4]
	s_and_saveexec_b64 s[0:1], vcc
	s_xor_b64 s[20:21], exec, s[0:1]
	s_cbranch_execz .LBB0_4
; %bb.3:                                ;   in Loop: Header=BB0_2 Depth=1
	v_cvt_f32_u32_e32 v4, s18
	v_cvt_f32_u32_e32 v7, s19
	s_sub_u32 s0, 0, s18
	s_subb_u32 s1, 0, s19
	v_mac_f32_e32 v4, 0x4f800000, v7
	v_rcp_f32_e32 v4, v4
	v_mul_f32_e32 v4, 0x5f7ffffc, v4
	v_mul_f32_e32 v7, 0x2f800000, v4
	v_trunc_f32_e32 v7, v7
	v_mac_f32_e32 v4, 0xcf800000, v7
	v_cvt_u32_f32_e32 v7, v7
	v_cvt_u32_f32_e32 v4, v4
	v_mul_lo_u32 v8, s0, v7
	v_mul_hi_u32 v9, s0, v4
	v_mul_lo_u32 v11, s1, v4
	v_mul_lo_u32 v10, s0, v4
	v_add_u32_e32 v8, v9, v8
	v_add_u32_e32 v8, v8, v11
	v_mul_hi_u32 v9, v4, v10
	v_mul_lo_u32 v11, v4, v8
	v_mul_hi_u32 v13, v4, v8
	v_mul_hi_u32 v12, v7, v10
	v_mul_lo_u32 v10, v7, v10
	v_mul_hi_u32 v14, v7, v8
	v_add_co_u32_e32 v9, vcc, v9, v11
	v_addc_co_u32_e32 v11, vcc, 0, v13, vcc
	v_mul_lo_u32 v8, v7, v8
	v_add_co_u32_e32 v9, vcc, v9, v10
	v_addc_co_u32_e32 v9, vcc, v11, v12, vcc
	v_addc_co_u32_e32 v10, vcc, 0, v14, vcc
	v_add_co_u32_e32 v8, vcc, v9, v8
	v_addc_co_u32_e32 v9, vcc, 0, v10, vcc
	v_add_co_u32_e32 v4, vcc, v4, v8
	v_addc_co_u32_e32 v7, vcc, v7, v9, vcc
	v_mul_lo_u32 v8, s0, v7
	v_mul_hi_u32 v9, s0, v4
	v_mul_lo_u32 v10, s1, v4
	v_mul_lo_u32 v11, s0, v4
	v_add_u32_e32 v8, v9, v8
	v_add_u32_e32 v8, v8, v10
	v_mul_lo_u32 v12, v4, v8
	v_mul_hi_u32 v13, v4, v11
	v_mul_hi_u32 v14, v4, v8
	;; [unrolled: 1-line block ×3, first 2 shown]
	v_mul_lo_u32 v11, v7, v11
	v_mul_hi_u32 v9, v7, v8
	v_add_co_u32_e32 v12, vcc, v13, v12
	v_addc_co_u32_e32 v13, vcc, 0, v14, vcc
	v_mul_lo_u32 v8, v7, v8
	v_add_co_u32_e32 v11, vcc, v12, v11
	v_addc_co_u32_e32 v10, vcc, v13, v10, vcc
	v_addc_co_u32_e32 v9, vcc, 0, v9, vcc
	v_add_co_u32_e32 v8, vcc, v10, v8
	v_addc_co_u32_e32 v9, vcc, 0, v9, vcc
	v_add_co_u32_e32 v4, vcc, v4, v8
	v_addc_co_u32_e32 v9, vcc, v7, v9, vcc
	v_mad_u64_u32 v[7:8], s[0:1], v5, v9, 0
	v_mul_hi_u32 v10, v5, v4
	v_add_co_u32_e32 v11, vcc, v10, v7
	v_addc_co_u32_e32 v12, vcc, 0, v8, vcc
	v_mad_u64_u32 v[7:8], s[0:1], v6, v4, 0
	v_mad_u64_u32 v[9:10], s[0:1], v6, v9, 0
	v_add_co_u32_e32 v4, vcc, v11, v7
	v_addc_co_u32_e32 v4, vcc, v12, v8, vcc
	v_addc_co_u32_e32 v7, vcc, 0, v10, vcc
	v_add_co_u32_e32 v4, vcc, v4, v9
	v_addc_co_u32_e32 v9, vcc, 0, v7, vcc
	v_mul_lo_u32 v10, s19, v4
	v_mul_lo_u32 v11, s18, v9
	v_mad_u64_u32 v[7:8], s[0:1], s18, v4, 0
	v_add3_u32 v8, v8, v11, v10
	v_sub_u32_e32 v10, v6, v8
	v_mov_b32_e32 v11, s19
	v_sub_co_u32_e32 v7, vcc, v5, v7
	v_subb_co_u32_e64 v10, s[0:1], v10, v11, vcc
	v_subrev_co_u32_e64 v11, s[0:1], s18, v7
	v_subbrev_co_u32_e64 v10, s[0:1], 0, v10, s[0:1]
	v_cmp_le_u32_e64 s[0:1], s19, v10
	v_cndmask_b32_e64 v12, 0, -1, s[0:1]
	v_cmp_le_u32_e64 s[0:1], s18, v11
	v_cndmask_b32_e64 v11, 0, -1, s[0:1]
	v_cmp_eq_u32_e64 s[0:1], s19, v10
	v_cndmask_b32_e64 v10, v12, v11, s[0:1]
	v_add_co_u32_e64 v11, s[0:1], 2, v4
	v_addc_co_u32_e64 v12, s[0:1], 0, v9, s[0:1]
	v_add_co_u32_e64 v13, s[0:1], 1, v4
	v_addc_co_u32_e64 v14, s[0:1], 0, v9, s[0:1]
	v_subb_co_u32_e32 v8, vcc, v6, v8, vcc
	v_cmp_ne_u32_e64 s[0:1], 0, v10
	v_cmp_le_u32_e32 vcc, s19, v8
	v_cndmask_b32_e64 v10, v14, v12, s[0:1]
	v_cndmask_b32_e64 v12, 0, -1, vcc
	v_cmp_le_u32_e32 vcc, s18, v7
	v_cndmask_b32_e64 v7, 0, -1, vcc
	v_cmp_eq_u32_e32 vcc, s19, v8
	v_cndmask_b32_e32 v7, v12, v7, vcc
	v_cmp_ne_u32_e32 vcc, 0, v7
	v_cndmask_b32_e64 v7, v13, v11, s[0:1]
	v_cndmask_b32_e32 v8, v9, v10, vcc
	v_cndmask_b32_e32 v7, v4, v7, vcc
.LBB0_4:                                ;   in Loop: Header=BB0_2 Depth=1
	s_andn2_saveexec_b64 s[0:1], s[20:21]
	s_cbranch_execz .LBB0_6
; %bb.5:                                ;   in Loop: Header=BB0_2 Depth=1
	v_cvt_f32_u32_e32 v4, s18
	s_sub_i32 s20, 0, s18
	v_rcp_iflag_f32_e32 v4, v4
	v_mul_f32_e32 v4, 0x4f7ffffe, v4
	v_cvt_u32_f32_e32 v4, v4
	v_mul_lo_u32 v7, s20, v4
	v_mul_hi_u32 v7, v4, v7
	v_add_u32_e32 v4, v4, v7
	v_mul_hi_u32 v4, v5, v4
	v_mul_lo_u32 v7, v4, s18
	v_add_u32_e32 v8, 1, v4
	v_sub_u32_e32 v7, v5, v7
	v_subrev_u32_e32 v9, s18, v7
	v_cmp_le_u32_e32 vcc, s18, v7
	v_cndmask_b32_e32 v7, v7, v9, vcc
	v_cndmask_b32_e32 v4, v4, v8, vcc
	v_add_u32_e32 v8, 1, v4
	v_cmp_le_u32_e32 vcc, s18, v7
	v_cndmask_b32_e32 v7, v4, v8, vcc
	v_mov_b32_e32 v8, v3
.LBB0_6:                                ;   in Loop: Header=BB0_2 Depth=1
	s_or_b64 exec, exec, s[0:1]
	v_mul_lo_u32 v4, v8, s18
	v_mul_lo_u32 v11, v7, s19
	v_mad_u64_u32 v[9:10], s[0:1], v7, s18, 0
	s_load_dwordx2 s[0:1], s[6:7], 0x0
	s_add_u32 s16, s16, 1
	v_add3_u32 v4, v10, v11, v4
	v_sub_co_u32_e32 v5, vcc, v5, v9
	v_subb_co_u32_e32 v4, vcc, v6, v4, vcc
	s_waitcnt lgkmcnt(0)
	v_mul_lo_u32 v4, s0, v4
	v_mul_lo_u32 v6, s1, v5
	v_mad_u64_u32 v[1:2], s[0:1], s0, v5, v[1:2]
	s_addc_u32 s17, s17, 0
	s_add_u32 s6, s6, 8
	v_add3_u32 v2, v6, v2, v4
	v_mov_b32_e32 v4, s10
	v_mov_b32_e32 v5, s11
	s_addc_u32 s7, s7, 0
	v_cmp_ge_u64_e32 vcc, s[16:17], v[4:5]
	s_add_u32 s14, s14, 8
	s_addc_u32 s15, s15, 0
	s_cbranch_vccnz .LBB0_9
; %bb.7:                                ;   in Loop: Header=BB0_2 Depth=1
	v_mov_b32_e32 v5, v7
	v_mov_b32_e32 v6, v8
	s_branch .LBB0_2
.LBB0_8:
	v_mov_b32_e32 v8, v6
	v_mov_b32_e32 v7, v5
.LBB0_9:
	s_lshl_b64 s[0:1], s[10:11], 3
	s_add_u32 s0, s12, s0
	s_addc_u32 s1, s13, s1
	s_load_dwordx2 s[6:7], s[0:1], 0x0
	s_load_dwordx2 s[10:11], s[4:5], 0x20
                                        ; implicit-def: $vgpr18_vgpr19
                                        ; implicit-def: $vgpr10_vgpr11
                                        ; implicit-def: $vgpr30_vgpr31
                                        ; implicit-def: $vgpr14_vgpr15
                                        ; implicit-def: $vgpr34_vgpr35
                                        ; implicit-def: $vgpr22_vgpr23
                                        ; implicit-def: $vgpr38_vgpr39
                                        ; implicit-def: $vgpr26_vgpr27
                                        ; implicit-def: $vgpr46_vgpr47
                                        ; implicit-def: $vgpr42_vgpr43
	s_waitcnt lgkmcnt(0)
	v_mad_u64_u32 v[1:2], s[0:1], s6, v7, v[1:2]
	v_mul_lo_u32 v3, s6, v8
	v_mul_lo_u32 v4, s7, v7
	s_mov_b32 s0, 0x2302303
	v_mul_hi_u32 v5, v0, s0
	v_cmp_gt_u64_e64 s[0:1], s[10:11], v[7:8]
	v_add3_u32 v2, v4, v2, v3
	v_lshlrev_b64 v[50:51], 4, v[1:2]
	v_mul_u32_u24_e32 v3, 0x75, v5
	v_sub_u32_e32 v48, v0, v3
                                        ; implicit-def: $vgpr2_vgpr3
                                        ; implicit-def: $vgpr6_vgpr7
	s_and_saveexec_b64 s[4:5], s[0:1]
	s_cbranch_execz .LBB0_11
; %bb.10:
	v_mov_b32_e32 v49, 0
	v_mov_b32_e32 v0, s3
	v_add_co_u32_e32 v2, vcc, s2, v50
	v_addc_co_u32_e32 v3, vcc, v0, v51, vcc
	v_lshlrev_b64 v[0:1], 4, v[48:49]
	s_movk_i32 s6, 0x2000
	v_add_co_u32_e32 v52, vcc, v2, v0
	v_addc_co_u32_e32 v53, vcc, v3, v1, vcc
	v_add_co_u32_e32 v54, vcc, s6, v52
	v_addc_co_u32_e32 v55, vcc, 0, v53, vcc
	s_movk_i32 s6, 0x3000
	v_add_co_u32_e32 v56, vcc, s6, v52
	v_addc_co_u32_e32 v57, vcc, 0, v53, vcc
	s_movk_i32 s6, 0x1000
	;; [unrolled: 3-line block ×3, first 2 shown]
	v_add_co_u32_e32 v60, vcc, s6, v52
	v_addc_co_u32_e32 v61, vcc, 0, v53, vcc
	v_add_co_u32_e32 v62, vcc, 0x5000, v52
	global_load_dwordx4 v[4:7], v[56:57], off offset:2688
	global_load_dwordx4 v[0:3], v[58:59], off offset:1520
	v_addc_co_u32_e32 v63, vcc, 0, v53, vcc
	global_load_dwordx4 v[40:43], v[52:53], off
	global_load_dwordx4 v[24:27], v[52:53], off offset:1872
	global_load_dwordx4 v[36:39], v[56:57], off offset:816
	;; [unrolled: 1-line block ×9, first 2 shown]
.LBB0_11:
	s_or_b64 exec, exec, s[4:5]
	s_waitcnt vmcnt(0)
	v_add_f64 v[74:75], v[8:9], -v[16:17]
	v_add_f64 v[62:63], v[20:21], -v[4:5]
	v_add_f64 v[70:71], v[12:13], -v[28:29]
	v_add_f64 v[54:55], v[40:41], -v[44:45]
	v_add_f64 v[58:59], v[24:25], -v[36:37]
	v_add_f64 v[44:45], v[42:43], -v[46:47]
	v_add_f64 v[66:67], v[0:1], -v[32:33]
	v_lshl_add_u32 v36, v48, 4, 0
	v_fma_f64 v[72:73], v[8:9], 2.0, -v[74:75]
	v_add_f64 v[8:9], v[26:27], -v[38:39]
	v_fma_f64 v[60:61], v[20:21], 2.0, -v[62:63]
	v_lshlrev_b32_e32 v4, 3, v48
	v_add_f64 v[20:21], v[22:23], -v[6:7]
	v_sub_u32_e32 v49, v36, v4
	v_add_f64 v[4:5], v[2:3], -v[34:35]
	v_add_f64 v[16:17], v[14:15], -v[30:31]
	v_fma_f64 v[68:69], v[12:13], 2.0, -v[70:71]
	v_add_f64 v[12:13], v[10:11], -v[18:19]
	v_fma_f64 v[52:53], v[40:41], 2.0, -v[54:55]
	v_fma_f64 v[56:57], v[24:25], 2.0, -v[58:59]
	;; [unrolled: 1-line block ×8, first 2 shown]
	v_add_u32_e32 v86, 0x249, v48
	v_fma_f64 v[10:11], v[10:11], 2.0, -v[12:13]
	v_add_u32_e32 v88, 0x75, v48
	v_add_u32_e32 v89, 0xea, v48
	v_add_u32_e32 v85, 0x15f, v48
	v_add_u32_e32 v84, 0x1d4, v48
	v_lshl_add_u32 v37, v86, 4, 0
	v_lshl_add_u32 v24, v88, 4, 0
	ds_write_b128 v36, v[52:55]
	ds_write_b128 v24, v[56:59]
	v_lshl_add_u32 v0, v89, 4, 0
	v_lshl_add_u32 v1, v85, 4, 0
	v_lshl_add_u32 v25, v84, 4, 0
	ds_write_b128 v37, v[72:75]
	v_add_u32_e32 v73, 0xc00, v49
	v_and_b32_e32 v91, 1, v48
	ds_write_b128 v0, v[60:63]
	ds_write_b128 v1, v[64:67]
	;; [unrolled: 1-line block ×3, first 2 shown]
	s_waitcnt lgkmcnt(0)
	s_barrier
	v_add_u32_e32 v87, 0x1400, v49
	v_add_u32_e32 v53, 0x400, v49
	;; [unrolled: 1-line block ×4, first 2 shown]
	ds_read2_b64 v[55:58], v49 offset1:117
	ds_read2_b64 v[59:62], v87 offset0:62 offset1:179
	ds_read2_b64 v[63:66], v53 offset0:106 offset1:223
	;; [unrolled: 1-line block ×5, first 2 shown]
	s_waitcnt lgkmcnt(0)
	s_barrier
	ds_write_b128 v36, v[42:45]
	ds_write_b128 v24, v[6:9]
	;; [unrolled: 1-line block ×6, first 2 shown]
	v_lshlrev_b32_e32 v8, 4, v91
	v_and_b32_e32 v16, 1, v88
	s_waitcnt lgkmcnt(0)
	s_barrier
	v_lshlrev_b32_e32 v9, 4, v16
	global_load_dwordx4 v[0:3], v8, s[8:9]
	global_load_dwordx4 v[4:7], v9, s[8:9]
	v_and_b32_e32 v92, 1, v85
	v_lshlrev_b32_e32 v8, 4, v92
	global_load_dwordx4 v[8:11], v8, s[8:9]
	v_and_b32_e32 v93, 1, v86
	v_lshlrev_b32_e32 v12, 4, v93
	global_load_dwordx4 v[12:15], v12, s[8:9]
	v_lshlrev_b32_e32 v52, 1, v48
	s_movk_i32 s4, 0xfc
	s_movk_i32 s5, 0x1fc
	v_lshlrev_b32_e32 v54, 1, v88
	v_and_or_b32 v17, v52, s4, v91
	v_and_or_b32 v16, v54, s5, v16
	v_lshl_add_u32 v95, v17, 3, 0
	v_lshl_add_u32 v96, v16, 3, 0
	ds_read2_b64 v[16:19], v87 offset0:62 offset1:179
	ds_read2_b64 v[20:23], v90 offset0:40 offset1:157
	;; [unrolled: 1-line block ×3, first 2 shown]
	ds_read2_b64 v[36:39], v49 offset1:117
	ds_read2_b64 v[40:43], v53 offset0:106 offset1:223
	ds_read2_b64 v[44:47], v73 offset0:84 offset1:201
	s_waitcnt vmcnt(0) lgkmcnt(0)
	s_barrier
	s_movk_i32 s4, 0x3fc
	v_and_b32_e32 v98, 3, v88
	v_and_b32_e32 v99, 3, v85
	;; [unrolled: 1-line block ×3, first 2 shown]
	s_mov_b32 s7, 0xbfebb67a
	s_movk_i32 s10, 0x6c
	v_cmp_gt_u32_e32 vcc, s10, v48
	v_mul_f64 v[71:72], v[16:17], v[2:3]
	v_mul_f64 v[74:75], v[18:19], v[6:7]
	;; [unrolled: 1-line block ×8, first 2 shown]
	v_fma_f64 v[59:60], v[59:60], v[0:1], -v[71:72]
	v_mul_f64 v[71:72], v[20:21], v[2:3]
	v_fma_f64 v[61:62], v[61:62], v[4:5], -v[74:75]
	v_mul_f64 v[74:75], v[67:68], v[2:3]
	v_mul_f64 v[2:3], v[32:33], v[2:3]
	v_fma_f64 v[22:23], v[22:23], v[8:9], v[10:11]
	v_mul_f64 v[14:15], v[34:35], v[14:15]
	v_add_f64 v[59:60], v[55:56], -v[59:60]
	v_fma_f64 v[67:68], v[67:68], v[0:1], -v[71:72]
	v_fma_f64 v[71:72], v[18:19], v[4:5], v[6:7]
	v_fma_f64 v[6:7], v[69:70], v[8:9], -v[78:79]
	v_add_f64 v[61:62], v[57:58], -v[61:62]
	v_fma_f64 v[4:5], v[16:17], v[0:1], v[76:77]
	v_fma_f64 v[18:19], v[32:33], v[0:1], -v[80:81]
	v_fma_f64 v[24:25], v[24:25], v[0:1], v[2:3]
	v_fma_f64 v[8:9], v[55:56], 2.0, -v[59:60]
	v_add_f64 v[16:17], v[63:64], -v[67:68]
	v_fma_f64 v[69:70], v[20:21], v[0:1], v[74:75]
	v_add_f64 v[2:3], v[65:66], -v[6:7]
	v_fma_f64 v[10:11], v[57:58], 2.0, -v[61:62]
	v_fma_f64 v[0:1], v[34:35], v[12:13], -v[82:83]
	ds_write2_b64 v95, v[8:9], v[59:60] offset1:2
	ds_write2_b64 v96, v[10:11], v[61:62] offset1:2
	v_fma_f64 v[6:7], v[63:64], 2.0, -v[16:17]
	v_fma_f64 v[8:9], v[65:66], 2.0, -v[2:3]
	v_add_f64 v[10:11], v[28:29], -v[18:19]
	v_add_f64 v[0:1], v[30:31], -v[0:1]
	v_lshlrev_b32_e32 v55, 1, v89
	v_fma_f64 v[12:13], v[26:27], v[12:13], v[14:15]
	v_and_or_b32 v14, v55, s4, v91
	v_lshl_add_u32 v57, v14, 3, 0
	v_lshlrev_b32_e32 v56, 1, v85
	ds_write2_b64 v57, v[6:7], v[16:17] offset1:2
	v_and_or_b32 v6, v56, s4, v92
	v_lshl_add_u32 v58, v6, 3, 0
	v_add_f64 v[26:27], v[36:37], -v[4:5]
	ds_write2_b64 v58, v[8:9], v[2:3] offset1:2
	v_fma_f64 v[2:3], v[28:29], 2.0, -v[10:11]
	v_add_f64 v[28:29], v[38:39], -v[71:72]
	v_fma_f64 v[6:7], v[30:31], 2.0, -v[0:1]
	v_add_f64 v[30:31], v[40:41], -v[69:70]
	v_add_f64 v[32:33], v[42:43], -v[22:23]
	;; [unrolled: 1-line block ×4, first 2 shown]
	v_fma_f64 v[36:37], v[36:37], 2.0, -v[26:27]
	v_lshlrev_b32_e32 v8, 1, v84
	v_fma_f64 v[38:39], v[38:39], 2.0, -v[28:29]
	s_movk_i32 s4, 0x7fc
	v_fma_f64 v[40:41], v[40:41], 2.0, -v[30:31]
	v_fma_f64 v[42:43], v[42:43], 2.0, -v[32:33]
	v_and_or_b32 v4, v8, s4, v91
	v_fma_f64 v[44:45], v[44:45], 2.0, -v[34:35]
	v_lshlrev_b32_e32 v9, 1, v86
	v_lshl_add_u32 v59, v4, 3, 0
	s_movk_i32 s4, 0x5fc
	v_fma_f64 v[46:47], v[46:47], 2.0, -v[12:13]
	ds_write2_b64 v59, v[2:3], v[10:11] offset1:2
	v_and_or_b32 v2, v9, s4, v93
	v_lshl_add_u32 v60, v2, 3, 0
	v_and_b32_e32 v84, 3, v48
	ds_write2_b64 v60, v[6:7], v[0:1] offset1:2
	s_waitcnt lgkmcnt(0)
	s_barrier
	ds_read2_b64 v[0:3], v49 offset1:117
	ds_read2_b64 v[4:7], v73 offset0:84 offset1:201
	ds_read2_b64 v[8:11], v90 offset0:40 offset1:157
	;; [unrolled: 1-line block ×5, first 2 shown]
	s_waitcnt lgkmcnt(0)
	s_barrier
	ds_write2_b64 v95, v[36:37], v[26:27] offset1:2
	ds_write2_b64 v96, v[38:39], v[28:29] offset1:2
	;; [unrolled: 1-line block ×6, first 2 shown]
	v_lshlrev_b32_e32 v12, 5, v84
	s_waitcnt lgkmcnt(0)
	s_barrier
	global_load_dwordx4 v[26:29], v12, s[8:9] offset:32
	v_lshlrev_b32_e32 v13, 5, v98
	global_load_dwordx4 v[30:33], v13, s[8:9] offset:32
	global_load_dwordx4 v[34:37], v12, s[8:9] offset:48
	;; [unrolled: 1-line block ×3, first 2 shown]
	v_lshlrev_b32_e32 v12, 5, v99
	global_load_dwordx4 v[61:64], v12, s[8:9] offset:32
	global_load_dwordx4 v[65:68], v12, s[8:9] offset:48
	v_lshlrev_b32_e32 v12, 5, v100
	global_load_dwordx4 v[69:72], v12, s[8:9] offset:32
	global_load_dwordx4 v[74:77], v12, s[8:9] offset:48
	ds_read2_b64 v[44:47], v73 offset0:84 offset1:201
	ds_read2_b64 v[78:81], v90 offset0:40 offset1:157
	;; [unrolled: 1-line block ×4, first 2 shown]
	s_mov_b32 s4, 0xe8584caa
	s_mov_b32 s5, 0x3febb67a
	;; [unrolled: 1-line block ×3, first 2 shown]
	s_waitcnt vmcnt(7) lgkmcnt(3)
	v_mul_f64 v[12:13], v[44:45], v[28:29]
	s_waitcnt vmcnt(6)
	v_mul_f64 v[59:60], v[46:47], v[32:33]
	v_mul_f64 v[28:29], v[4:5], v[28:29]
	;; [unrolled: 1-line block ×3, first 2 shown]
	s_waitcnt vmcnt(5) lgkmcnt(2)
	v_mul_f64 v[82:83], v[78:79], v[36:37]
	v_mul_f64 v[36:37], v[8:9], v[36:37]
	s_waitcnt vmcnt(4)
	v_mul_f64 v[86:87], v[80:81], v[40:41]
	v_fma_f64 v[42:43], v[4:5], v[26:27], -v[12:13]
	s_waitcnt vmcnt(3) lgkmcnt(1)
	v_mul_f64 v[12:13], v[92:93], v[63:64]
	v_mul_f64 v[4:5], v[10:11], v[40:41]
	v_fma_f64 v[40:41], v[6:7], v[30:31], -v[59:60]
	s_waitcnt vmcnt(2) lgkmcnt(0)
	v_mul_f64 v[6:7], v[96:97], v[67:68]
	v_fma_f64 v[57:58], v[44:45], v[26:27], v[28:29]
	v_fma_f64 v[44:45], v[46:47], v[30:31], v[32:33]
	v_fma_f64 v[59:60], v[8:9], v[34:35], -v[82:83]
	v_fma_f64 v[36:37], v[78:79], v[34:35], v[36:37]
	v_fma_f64 v[46:47], v[10:11], v[38:39], -v[86:87]
	v_fma_f64 v[34:35], v[20:21], v[61:62], -v[12:13]
	s_waitcnt vmcnt(1)
	v_mul_f64 v[8:9], v[90:91], v[71:72]
	v_mul_f64 v[10:11], v[18:19], v[71:72]
	s_waitcnt vmcnt(0)
	v_mul_f64 v[12:13], v[94:95], v[76:77]
	v_fma_f64 v[32:33], v[80:81], v[38:39], v[4:5]
	v_mul_f64 v[4:5], v[20:21], v[63:64]
	v_fma_f64 v[38:39], v[24:25], v[65:66], -v[6:7]
	v_mul_f64 v[6:7], v[24:25], v[67:68]
	v_mul_f64 v[20:21], v[22:23], v[76:77]
	v_fma_f64 v[67:68], v[18:19], v[69:70], -v[8:9]
	v_fma_f64 v[71:72], v[90:91], v[69:70], v[10:11]
	v_fma_f64 v[69:70], v[22:23], v[74:75], -v[12:13]
	v_add_f64 v[24:25], v[40:41], v[46:47]
	v_fma_f64 v[61:62], v[92:93], v[61:62], v[4:5]
	v_add_f64 v[4:5], v[34:35], v[38:39]
	v_fma_f64 v[63:64], v[96:97], v[65:66], v[6:7]
	v_fma_f64 v[65:66], v[94:95], v[74:75], v[20:21]
	v_add_f64 v[20:21], v[42:43], v[59:60]
	v_add_f64 v[10:11], v[44:45], -v[32:33]
	v_add_f64 v[22:23], v[67:68], v[69:70]
	v_fma_f64 v[6:7], v[24:25], -0.5, v[2:3]
	v_add_f64 v[24:25], v[57:58], -v[36:37]
	v_fma_f64 v[4:5], v[4:5], -0.5, v[16:17]
	v_add_f64 v[18:19], v[61:62], -v[63:64]
	v_add_f64 v[30:31], v[71:72], -v[65:66]
	v_fma_f64 v[20:21], v[20:21], -0.5, v[0:1]
	v_add_f64 v[0:1], v[0:1], v[42:43]
	v_fma_f64 v[26:27], v[22:23], -0.5, v[14:15]
	v_add_f64 v[74:75], v[16:17], v[34:35]
	v_add_f64 v[2:3], v[2:3], v[40:41]
	;; [unrolled: 1-line block ×3, first 2 shown]
	v_fma_f64 v[12:13], v[18:19], s[4:5], v[4:5]
	v_fma_f64 v[14:15], v[18:19], s[6:7], v[4:5]
	;; [unrolled: 1-line block ×3, first 2 shown]
	v_add_f64 v[4:5], v[0:1], v[59:60]
	v_lshrrev_b32_e32 v0, 2, v48
	v_mul_u32_u24_e32 v0, 12, v0
	v_fma_f64 v[10:11], v[10:11], s[6:7], v[6:7]
	v_fma_f64 v[6:7], v[24:25], s[4:5], v[20:21]
	;; [unrolled: 1-line block ×5, first 2 shown]
	v_add_f64 v[26:27], v[74:75], v[38:39]
	v_or_b32_e32 v74, v0, v84
	v_lshrrev_b32_e32 v0, 2, v88
	v_add_f64 v[22:23], v[2:3], v[46:47]
	v_add_f64 v[16:17], v[28:29], v[69:70]
	v_mul_u32_u24_e32 v0, 12, v0
	v_lshrrev_b32_e32 v87, 2, v89
	v_or_b32_e32 v75, v0, v98
	v_mul_u32_u24_e32 v0, 12, v87
	v_lshrrev_b32_e32 v86, 2, v85
	v_or_b32_e32 v76, v0, v100
	v_mul_u32_u24_e32 v0, 12, v86
	v_or_b32_e32 v77, v0, v99
	ds_read2_b64 v[0:3], v49 offset1:117
	ds_read2_b64 v[28:31], v53 offset0:106 offset1:223
	v_lshl_add_u32 v74, v74, 3, 0
	v_lshl_add_u32 v75, v75, 3, 0
	;; [unrolled: 1-line block ×4, first 2 shown]
	s_waitcnt lgkmcnt(0)
	s_barrier
	ds_write2_b64 v74, v[4:5], v[6:7] offset1:4
	ds_write_b64 v74, v[20:21] offset:64
	ds_write2_b64 v75, v[22:23], v[8:9] offset1:4
	ds_write_b64 v75, v[10:11] offset:64
	;; [unrolled: 2-line block ×4, first 2 shown]
	s_waitcnt lgkmcnt(0)
	s_barrier
	s_waitcnt lgkmcnt(0)
                                        ; implicit-def: $vgpr81_vgpr82
	s_and_saveexec_b64 s[10:11], vcc
	s_cbranch_execz .LBB0_13
; %bb.12:
	v_add_u32_e32 v12, 0x1000, v49
	ds_read2_b64 v[4:7], v49 offset1:108
	ds_read2_b64 v[20:23], v53 offset0:88 offset1:196
	ds_read2_b64 v[8:11], v73 offset0:48 offset1:156
	;; [unrolled: 1-line block ×3, first 2 shown]
	v_add_u32_e32 v12, 0x1800, v49
	ds_read2_b64 v[24:27], v12 offset0:96 offset1:204
	v_add_u32_e32 v12, 0x2000, v49
	ds_read2_b64 v[12:15], v12 offset0:56 offset1:164
	ds_read_b64 v[81:82], v49 offset:10368
.LBB0_13:
	s_or_b64 exec, exec, s[10:11]
	v_add_f64 v[78:79], v[57:58], v[36:37]
	v_add_f64 v[57:58], v[0:1], v[57:58]
	v_add_f64 v[42:43], v[42:43], -v[59:60]
	v_add_f64 v[59:60], v[2:3], v[44:45]
	v_add_f64 v[44:45], v[44:45], v[32:33]
	v_add_f64 v[40:41], v[40:41], -v[46:47]
	v_add_f64 v[46:47], v[71:72], v[65:66]
	v_add_f64 v[83:84], v[61:62], v[63:64]
	v_fma_f64 v[78:79], v[78:79], -0.5, v[0:1]
	v_add_f64 v[71:72], v[28:29], v[71:72]
	v_add_f64 v[67:68], v[67:68], -v[69:70]
	v_add_f64 v[61:62], v[30:31], v[61:62]
	v_fma_f64 v[44:45], v[44:45], -0.5, v[2:3]
	v_add_f64 v[0:1], v[57:58], v[36:37]
	v_fma_f64 v[46:47], v[46:47], -0.5, v[28:29]
	v_fma_f64 v[57:58], v[83:84], -0.5, v[30:31]
	v_add_f64 v[69:70], v[34:35], -v[38:39]
	v_fma_f64 v[2:3], v[42:43], s[6:7], v[78:79]
	v_fma_f64 v[28:29], v[42:43], s[4:5], v[78:79]
	v_add_f64 v[30:31], v[59:60], v[32:33]
	v_fma_f64 v[32:33], v[40:41], s[6:7], v[44:45]
	v_fma_f64 v[34:35], v[40:41], s[4:5], v[44:45]
	v_add_f64 v[36:37], v[71:72], v[65:66]
	;; [unrolled: 3-line block ×3, first 2 shown]
	v_fma_f64 v[44:45], v[69:70], s[6:7], v[57:58]
	v_fma_f64 v[46:47], v[69:70], s[4:5], v[57:58]
	s_waitcnt lgkmcnt(0)
	s_barrier
	ds_write2_b64 v74, v[0:1], v[2:3] offset1:4
	ds_write_b64 v74, v[28:29] offset:64
	ds_write2_b64 v75, v[30:31], v[32:33] offset1:4
	ds_write_b64 v75, v[34:35] offset:64
	;; [unrolled: 2-line block ×4, first 2 shown]
	s_waitcnt lgkmcnt(0)
	s_barrier
	s_waitcnt lgkmcnt(0)
                                        ; implicit-def: $vgpr83_vgpr84
	s_and_saveexec_b64 s[4:5], vcc
	s_cbranch_execz .LBB0_15
; %bb.14:
	v_add_u32_e32 v28, 0x400, v49
	v_add_u32_e32 v32, 0xc00, v49
	;; [unrolled: 1-line block ×5, first 2 shown]
	ds_read2_b64 v[0:3], v49 offset1:108
	ds_read2_b64 v[28:31], v28 offset0:88 offset1:196
	ds_read2_b64 v[32:35], v32 offset0:48 offset1:156
	;; [unrolled: 1-line block ×5, first 2 shown]
	ds_read_b64 v[83:84], v49 offset:10368
.LBB0_15:
	s_or_b64 exec, exec, s[4:5]
	s_movk_i32 s4, 0xab
	v_mul_lo_u16_sdwa v53, v48, s4 dst_sel:DWORD dst_unused:UNUSED_PAD src0_sel:BYTE_0 src1_sel:DWORD
	v_lshrrev_b16_e32 v53, 11, v53
	v_mul_lo_u16_e32 v57, 12, v53
	v_sub_u16_e32 v90, v48, v57
	v_mov_b32_e32 v57, 12
	v_mul_u32_u24_sdwa v57, v90, v57 dst_sel:DWORD dst_unused:UNUSED_PAD src0_sel:BYTE_0 src1_sel:DWORD
	v_lshlrev_b32_e32 v73, 4, v57
	global_load_dwordx4 v[57:60], v73, s[8:9] offset:160
	global_load_dwordx4 v[61:64], v73, s[8:9] offset:176
	;; [unrolled: 1-line block ×12, first 2 shown]
	s_waitcnt vmcnt(0) lgkmcnt(0)
	s_barrier
	v_mul_f64 v[79:80], v[2:3], v[59:60]
	v_mul_f64 v[59:60], v[6:7], v[59:60]
	;; [unrolled: 1-line block ×24, first 2 shown]
	v_fma_f64 v[71:72], v[20:21], v[61:62], -v[73:74]
	v_fma_f64 v[73:74], v[28:29], v[61:62], v[63:64]
	v_fma_f64 v[67:68], v[22:23], v[65:66], -v[119:120]
	v_fma_f64 v[65:66], v[30:31], v[65:66], v[121:122]
	;; [unrolled: 2-line block ×12, first 2 shown]
	s_and_saveexec_b64 s[4:5], vcc
	s_cbranch_execz .LBB0_17
; %bb.16:
	v_add_f64 v[16:17], v[79:80], -v[44:45]
	s_mov_b32 s18, 0x4bc48dbf
	s_mov_b32 s19, 0xbfcea1e5
	v_add_f64 v[83:84], v[73:74], -v[46:47]
	v_add_f64 v[91:92], v[77:78], v[81:82]
	s_mov_b32 s16, 0x93053d00
	s_mov_b32 s29, 0x3fddbe06
	;; [unrolled: 1-line block ×3, first 2 shown]
	v_mul_f64 v[93:94], v[16:17], s[18:19]
	s_mov_b32 s17, 0xbfef11f4
	v_add_f64 v[95:96], v[65:66], -v[42:43]
	v_add_f64 v[97:98], v[71:72], v[75:76]
	v_mul_f64 v[99:100], v[83:84], s[28:29]
	s_mov_b32 s22, 0x24c2f84
	s_mov_b32 s20, 0xe00740e9
	;; [unrolled: 1-line block ×3, first 2 shown]
	v_fma_f64 v[101:102], v[91:92], s[16:17], v[93:94]
	s_mov_b32 s21, 0x3fec55a7
	v_add_f64 v[24:25], v[61:62], -v[26:27]
	v_add_f64 v[103:104], v[67:68], v[69:70]
	v_mul_f64 v[105:106], v[95:96], s[22:23]
	v_fma_f64 v[107:108], v[97:98], s[20:21], v[99:100]
	s_mov_b32 s38, 0x42a4c3d2
	s_mov_b32 s24, 0xd0032e0c
	v_add_f64 v[101:102], v[4:5], v[101:102]
	s_mov_b32 s39, 0x3fea55e2
	s_mov_b32 s25, 0xbfe7f3cc
	v_add_f64 v[6:7], v[57:58], -v[36:37]
	v_add_f64 v[22:23], v[63:64], v[40:41]
	v_fma_f64 v[93:94], v[91:92], s[16:17], -v[93:94]
	v_mul_f64 v[109:110], v[24:25], s[38:39]
	v_fma_f64 v[111:112], v[103:104], s[24:25], v[105:106]
	v_mul_f64 v[113:114], v[16:17], s[22:23]
	v_add_f64 v[101:102], v[107:108], v[101:102]
	s_mov_b32 s14, 0x66966769
	s_mov_b32 s12, 0x2ef20147
	;; [unrolled: 1-line block ×6, first 2 shown]
	v_add_f64 v[2:3], v[28:29], -v[30:31]
	v_add_f64 v[10:11], v[59:60], v[38:39]
	v_mul_f64 v[14:15], v[6:7], s[12:13]
	v_fma_f64 v[99:100], v[97:98], s[20:21], -v[99:100]
	v_add_f64 v[93:94], v[4:5], v[93:94]
	v_fma_f64 v[107:108], v[22:23], s[26:27], v[109:110]
	v_mul_f64 v[115:116], v[83:84], s[14:15]
	v_fma_f64 v[117:118], v[91:92], s[24:25], v[113:114]
	v_add_f64 v[101:102], v[111:112], v[101:102]
	s_mov_b32 s6, 0xebaa3ed8
	s_mov_b32 s10, 0xb2365da1
	;; [unrolled: 1-line block ×6, first 2 shown]
	v_add_f64 v[8:9], v[32:33], v[34:35]
	v_mul_f64 v[12:13], v[2:3], s[14:15]
	v_fma_f64 v[20:21], v[10:11], s[10:11], v[14:15]
	v_fma_f64 v[105:106], v[103:104], s[24:25], -v[105:106]
	v_add_f64 v[93:94], v[99:100], v[93:94]
	v_mul_f64 v[99:100], v[95:96], s[30:31]
	v_fma_f64 v[111:112], v[97:98], s[6:7], v[115:116]
	v_add_f64 v[117:118], v[4:5], v[117:118]
	v_add_f64 v[101:102], v[107:108], v[101:102]
	s_mov_b32 s41, 0x3fcea1e5
	s_mov_b32 s40, s18
	v_fma_f64 v[18:19], v[8:9], s[6:7], v[12:13]
	v_fma_f64 v[107:108], v[22:23], s[26:27], -v[109:110]
	v_add_f64 v[93:94], v[105:106], v[93:94]
	v_mul_f64 v[105:106], v[24:25], s[40:41]
	v_fma_f64 v[109:110], v[103:104], s[26:27], v[99:100]
	v_add_f64 v[111:112], v[111:112], v[117:118]
	v_add_f64 v[20:21], v[20:21], v[101:102]
	v_mul_f64 v[101:102], v[6:7], s[28:29]
	s_mov_b32 s37, 0x3fe5384d
	s_mov_b32 s36, s22
	v_add_f64 v[93:94], v[107:108], v[93:94]
	v_fma_f64 v[107:108], v[22:23], s[16:17], v[105:106]
	v_fma_f64 v[14:15], v[10:11], s[10:11], -v[14:15]
	v_add_f64 v[109:110], v[109:110], v[111:112]
	v_add_f64 v[18:19], v[18:19], v[20:21]
	v_mul_f64 v[20:21], v[16:17], s[12:13]
	v_fma_f64 v[111:112], v[91:92], s[24:25], -v[113:114]
	v_fma_f64 v[113:114], v[10:11], s[20:21], v[101:102]
	v_fma_f64 v[12:13], v[8:9], s[6:7], -v[12:13]
	v_fma_f64 v[115:116], v[97:98], s[6:7], -v[115:116]
	v_add_f64 v[14:15], v[14:15], v[93:94]
	v_add_f64 v[107:108], v[107:108], v[109:110]
	v_mul_f64 v[109:110], v[83:84], s[36:37]
	v_fma_f64 v[117:118], v[91:92], s[10:11], v[20:21]
	v_mul_f64 v[93:94], v[2:3], s[12:13]
	v_add_f64 v[111:112], v[4:5], v[111:112]
	s_mov_b32 s35, 0xbfefc445
	s_mov_b32 s34, s14
	v_add_f64 v[12:13], v[12:13], v[14:15]
	v_add_f64 v[107:108], v[113:114], v[107:108]
	v_mul_f64 v[113:114], v[95:96], s[28:29]
	v_fma_f64 v[119:120], v[97:98], s[24:25], v[109:110]
	v_add_f64 v[117:118], v[4:5], v[117:118]
	v_fma_f64 v[14:15], v[8:9], s[10:11], v[93:94]
	v_fma_f64 v[99:100], v[103:104], s[26:27], -v[99:100]
	v_add_f64 v[111:112], v[115:116], v[111:112]
	v_mul_f64 v[115:116], v[24:25], s[34:35]
	v_fma_f64 v[20:21], v[91:92], s[10:11], -v[20:21]
	v_fma_f64 v[121:122], v[103:104], s[20:21], v[113:114]
	v_fma_f64 v[105:106], v[22:23], s[16:17], -v[105:106]
	v_add_f64 v[117:118], v[119:120], v[117:118]
	v_add_f64 v[14:15], v[14:15], v[107:108]
	v_mul_f64 v[107:108], v[6:7], s[40:41]
	v_add_f64 v[99:100], v[99:100], v[111:112]
	v_fma_f64 v[111:112], v[22:23], s[6:7], v[115:116]
	v_fma_f64 v[109:110], v[97:98], s[24:25], -v[109:110]
	v_add_f64 v[20:21], v[4:5], v[20:21]
	v_fma_f64 v[101:102], v[10:11], s[20:21], -v[101:102]
	v_add_f64 v[117:118], v[121:122], v[117:118]
	v_fma_f64 v[113:114], v[103:104], s[20:21], -v[113:114]
	v_fma_f64 v[119:120], v[10:11], s[16:17], v[107:108]
	v_add_f64 v[99:100], v[105:106], v[99:100]
	v_mul_f64 v[105:106], v[2:3], s[38:39]
	v_mul_f64 v[121:122], v[16:17], s[34:35]
	v_add_f64 v[20:21], v[109:110], v[20:21]
	s_mov_b32 s39, 0x3fedeba7
	v_add_f64 v[109:110], v[111:112], v[117:118]
	v_fma_f64 v[111:112], v[22:23], s[6:7], -v[115:116]
	v_mul_f64 v[115:116], v[83:84], s[18:19]
	v_add_f64 v[99:100], v[101:102], v[99:100]
	v_fma_f64 v[101:102], v[8:9], s[26:27], v[105:106]
	v_fma_f64 v[117:118], v[91:92], s[6:7], v[121:122]
	v_add_f64 v[20:21], v[113:114], v[20:21]
	s_mov_b32 s38, s12
	v_add_f64 v[109:110], v[119:120], v[109:110]
	v_mul_f64 v[113:114], v[95:96], s[38:39]
	v_fma_f64 v[119:120], v[97:98], s[16:17], v[115:116]
	v_fma_f64 v[93:94], v[8:9], s[10:11], -v[93:94]
	v_fma_f64 v[115:116], v[97:98], s[16:17], -v[115:116]
	v_add_f64 v[117:118], v[4:5], v[117:118]
	v_add_f64 v[20:21], v[111:112], v[20:21]
	;; [unrolled: 1-line block ×4, first 2 shown]
	v_fma_f64 v[109:110], v[91:92], s[6:7], -v[121:122]
	v_fma_f64 v[121:122], v[103:104], s[10:11], v[113:114]
	v_add_f64 v[93:94], v[93:94], v[99:100]
	v_mul_f64 v[99:100], v[24:25], s[28:29]
	v_add_f64 v[117:118], v[119:120], v[117:118]
	v_mul_f64 v[119:120], v[16:17], s[30:31]
	;; [unrolled: 2-line block ×3, first 2 shown]
	v_add_f64 v[109:110], v[4:5], v[109:110]
	s_mov_b32 s29, 0xbfddbe06
	v_mul_f64 v[16:17], v[16:17], s[28:29]
	v_fma_f64 v[113:114], v[103:104], s[10:11], -v[113:114]
	v_add_f64 v[117:118], v[121:122], v[117:118]
	v_fma_f64 v[121:122], v[91:92], s[26:27], v[119:120]
	v_add_f64 v[111:112], v[111:112], v[67:68]
	v_fma_f64 v[119:120], v[91:92], s[26:27], -v[119:120]
	v_add_f64 v[109:110], v[115:116], v[109:110]
	v_mul_f64 v[115:116], v[83:84], s[12:13]
	v_fma_f64 v[127:128], v[91:92], s[20:21], -v[16:17]
	v_fma_f64 v[16:17], v[91:92], s[20:21], v[16:17]
	v_mul_f64 v[91:92], v[95:96], s[18:19]
	v_add_f64 v[121:122], v[4:5], v[121:122]
	v_add_f64 v[111:112], v[111:112], v[63:64]
	v_fma_f64 v[107:108], v[10:11], s[16:17], -v[107:108]
	v_add_f64 v[109:110], v[113:114], v[109:110]
	v_fma_f64 v[113:114], v[97:98], s[10:11], v[115:116]
	v_mul_f64 v[83:84], v[83:84], s[30:31]
	v_fma_f64 v[125:126], v[22:23], s[20:21], v[99:100]
	v_fma_f64 v[129:130], v[103:104], s[16:17], v[91:92]
	v_add_f64 v[127:128], v[4:5], v[127:128]
	v_add_f64 v[111:112], v[111:112], v[59:60]
	;; [unrolled: 1-line block ×3, first 2 shown]
	v_mul_f64 v[107:108], v[6:7], s[30:31]
	v_add_f64 v[113:114], v[113:114], v[121:122]
	v_mul_f64 v[121:122], v[24:25], s[36:37]
	v_mul_f64 v[95:96], v[95:96], s[34:35]
	v_add_f64 v[119:120], v[4:5], v[119:120]
	v_fma_f64 v[115:116], v[97:98], s[10:11], -v[115:116]
	v_add_f64 v[111:112], v[111:112], v[32:33]
	v_add_f64 v[4:5], v[4:5], v[16:17]
	v_add_f64 v[117:118], v[125:126], v[117:118]
	v_add_f64 v[113:114], v[129:130], v[113:114]
	v_fma_f64 v[129:130], v[22:23], s[24:25], v[121:122]
	v_fma_f64 v[125:126], v[10:11], s[26:27], v[107:108]
	v_mul_f64 v[24:25], v[24:25], s[12:13]
	v_fma_f64 v[91:92], v[103:104], s[16:17], -v[91:92]
	v_add_f64 v[111:112], v[111:112], v[34:35]
	v_add_f64 v[115:116], v[115:116], v[119:120]
	v_fma_f64 v[99:100], v[22:23], s[20:21], -v[99:100]
	v_mul_f64 v[16:17], v[2:3], s[22:23]
	v_add_f64 v[113:114], v[129:130], v[113:114]
	v_fma_f64 v[129:130], v[97:98], s[26:27], -v[83:84]
	v_fma_f64 v[83:84], v[97:98], s[26:27], v[83:84]
	v_add_f64 v[117:118], v[125:126], v[117:118]
	v_add_f64 v[111:112], v[111:112], v[38:39]
	v_mul_f64 v[125:126], v[6:7], s[14:15]
	v_mul_f64 v[6:7], v[6:7], s[22:23]
	v_add_f64 v[91:92], v[91:92], v[115:116]
	v_mul_f64 v[2:3], v[2:3], s[18:19]
	v_add_f64 v[127:128], v[129:130], v[127:128]
	v_fma_f64 v[129:130], v[103:104], s[6:7], -v[95:96]
	v_fma_f64 v[95:96], v[103:104], s[6:7], v[95:96]
	v_add_f64 v[4:5], v[83:84], v[4:5]
	v_fma_f64 v[103:104], v[22:23], s[10:11], -v[24:25]
	v_add_f64 v[111:112], v[111:112], v[40:41]
	v_fma_f64 v[83:84], v[22:23], s[24:25], -v[121:122]
	v_fma_f64 v[22:23], v[22:23], s[10:11], v[24:25]
	v_fma_f64 v[97:98], v[10:11], s[6:7], v[125:126]
	v_add_f64 v[119:120], v[129:130], v[127:128]
	v_add_f64 v[99:100], v[99:100], v[109:110]
	;; [unrolled: 1-line block ×3, first 2 shown]
	v_fma_f64 v[95:96], v[10:11], s[24:25], -v[6:7]
	v_add_f64 v[111:112], v[111:112], v[69:70]
	v_fma_f64 v[107:108], v[10:11], s[26:27], -v[107:108]
	v_fma_f64 v[24:25], v[10:11], s[6:7], -v[125:126]
	v_add_f64 v[83:84], v[83:84], v[91:92]
	v_add_f64 v[103:104], v[103:104], v[119:120]
	v_fma_f64 v[6:7], v[10:11], s[24:25], v[6:7]
	v_add_f64 v[4:5], v[22:23], v[4:5]
	v_fma_f64 v[105:106], v[8:9], s[26:27], -v[105:106]
	v_add_f64 v[10:11], v[97:98], v[113:114]
	v_fma_f64 v[91:92], v[8:9], s[16:17], -v[2:3]
	v_add_f64 v[97:98], v[111:112], v[75:76]
	v_fma_f64 v[109:110], v[8:9], s[24:25], v[16:17]
	v_add_f64 v[95:96], v[95:96], v[103:104]
	v_fma_f64 v[16:17], v[8:9], s[24:25], -v[16:17]
	v_add_f64 v[99:100], v[107:108], v[99:100]
	v_fma_f64 v[22:23], v[8:9], s[20:21], -v[123:124]
	v_add_f64 v[24:25], v[24:25], v[83:84]
	v_fma_f64 v[107:108], v[8:9], s[20:21], v[123:124]
	v_fma_f64 v[2:3], v[8:9], s[16:17], v[2:3]
	v_add_f64 v[4:5], v[6:7], v[4:5]
	v_add_f64 v[6:7], v[105:106], v[20:21]
	;; [unrolled: 1-line block ×9, first 2 shown]
	v_mov_b32_e32 v5, 3
	v_mul_u32_u24_e32 v4, 0x4e0, v53
	v_lshlrev_b32_sdwa v5, v5, v90 dst_sel:DWORD dst_unused:UNUSED_PAD src0_sel:DWORD src1_sel:BYTE_0
	v_add3_u32 v4, 0, v4, v5
	ds_write2_b64 v4, v[83:84], v[20:21] offset1:12
	ds_write2_b64 v4, v[22:23], v[16:17] offset0:24 offset1:36
	ds_write2_b64 v4, v[6:7], v[93:94] offset0:48 offset1:60
	;; [unrolled: 1-line block ×5, first 2 shown]
	ds_write_b64 v4, v[2:3] offset:1152
.LBB0_17:
	s_or_b64 exec, exec, s[4:5]
	v_add_u32_e32 v83, 0xc00, v49
	v_add_u32_e32 v84, 0x1c00, v49
	;; [unrolled: 1-line block ×5, first 2 shown]
	s_waitcnt lgkmcnt(0)
	s_barrier
	ds_read2_b64 v[6:9], v49 offset1:117
	ds_read2_b64 v[18:21], v83 offset0:84 offset1:201
	ds_read2_b64 v[22:25], v84 offset0:40 offset1:157
	;; [unrolled: 1-line block ×5, first 2 shown]
	s_waitcnt lgkmcnt(0)
	s_barrier
	s_and_saveexec_b64 s[4:5], vcc
	s_cbranch_execz .LBB0_19
; %bb.18:
	v_add_f64 v[94:95], v[0:1], v[79:80]
	v_add_f64 v[77:78], v[77:78], -v[81:82]
	v_add_f64 v[71:72], v[71:72], -v[75:76]
	s_mov_b32 s24, 0x42a4c3d2
	s_mov_b32 s25, 0xbfea55e2
	v_add_f64 v[79:80], v[79:80], v[44:45]
	s_mov_b32 s6, 0x1ea71119
	s_mov_b32 s34, 0x66966769
	v_add_f64 v[81:82], v[94:95], v[73:74]
	v_mul_f64 v[94:95], v[77:78], s[24:25]
	s_mov_b32 s18, 0x2ef20147
	s_mov_b32 s7, 0x3fe22d96
	;; [unrolled: 1-line block ×4, first 2 shown]
	v_add_f64 v[73:74], v[73:74], v[46:47]
	v_mul_f64 v[96:97], v[77:78], s[34:35]
	v_add_f64 v[81:82], v[81:82], v[65:66]
	v_mul_f64 v[98:99], v[77:78], s[18:19]
	v_mul_f64 v[104:105], v[71:72], s[18:19]
	v_fma_f64 v[114:115], v[79:80], s[6:7], v[94:95]
	v_fma_f64 v[94:95], v[79:80], s[6:7], -v[94:95]
	s_mov_b32 s12, 0xebaa3ed8
	s_mov_b32 s16, 0xb2365da1
	s_mov_b32 s22, 0x24c2f84
	v_add_f64 v[81:82], v[81:82], v[61:62]
	s_mov_b32 s28, 0x4bc48dbf
	s_mov_b32 s15, 0xbfddbe06
	;; [unrolled: 1-line block ×7, first 2 shown]
	v_add_f64 v[75:76], v[81:82], v[57:58]
	s_mov_b32 s37, 0x3fe5384d
	s_mov_b32 s36, s22
	v_mul_f64 v[81:82], v[77:78], s[14:15]
	v_mul_f64 v[100:101], v[77:78], s[22:23]
	;; [unrolled: 1-line block ×5, first 2 shown]
	v_add_f64 v[75:76], v[75:76], v[28:29]
	v_fma_f64 v[116:117], v[79:80], s[12:13], v[96:97]
	v_fma_f64 v[96:97], v[79:80], s[12:13], -v[96:97]
	v_fma_f64 v[118:119], v[79:80], s[16:17], v[98:99]
	v_fma_f64 v[98:99], v[79:80], s[16:17], -v[98:99]
	;; [unrolled: 2-line block ×3, first 2 shown]
	v_add_f64 v[94:95], v[0:1], v[94:95]
	v_add_f64 v[75:76], v[75:76], v[30:31]
	s_mov_b32 s10, 0xe00740e9
	s_mov_b32 s20, 0xd0032e0c
	;; [unrolled: 1-line block ×7, first 2 shown]
	v_add_f64 v[75:76], v[75:76], v[36:37]
	s_mov_b32 s30, s34
	s_mov_b32 s15, 0x3fddbe06
	v_mul_f64 v[102:103], v[71:72], s[24:25]
	v_mul_f64 v[110:111], v[71:72], s[30:31]
	v_fma_f64 v[112:113], v[79:80], s[10:11], v[81:82]
	v_fma_f64 v[81:82], v[79:80], s[10:11], -v[81:82]
	v_fma_f64 v[120:121], v[79:80], s[20:21], v[100:101]
	v_add_f64 v[75:76], v[75:76], v[26:27]
	v_fma_f64 v[100:101], v[79:80], s[20:21], -v[100:101]
	v_fma_f64 v[122:123], v[79:80], s[26:27], v[77:78]
	v_fma_f64 v[77:78], v[79:80], s[26:27], -v[77:78]
	v_add_f64 v[96:97], v[0:1], v[96:97]
	v_add_f64 v[98:99], v[0:1], v[98:99]
	;; [unrolled: 1-line block ×3, first 2 shown]
	v_add_f64 v[67:68], v[67:68], -v[69:70]
	v_add_f64 v[75:76], v[75:76], v[42:43]
	v_fma_f64 v[104:105], v[73:74], s[20:21], -v[108:109]
	v_mul_f64 v[71:72], v[71:72], s[14:15]
	v_fma_f64 v[79:80], v[73:74], s[6:7], v[102:103]
	v_fma_f64 v[102:103], v[73:74], s[6:7], -v[102:103]
	v_add_f64 v[112:113], v[0:1], v[112:113]
	v_add_f64 v[81:82], v[0:1], v[81:82]
	;; [unrolled: 1-line block ×10, first 2 shown]
	v_fma_f64 v[69:70], v[73:74], s[20:21], v[108:109]
	v_add_f64 v[44:45], v[46:47], v[44:45]
	v_fma_f64 v[46:47], v[73:74], s[26:27], -v[106:107]
	v_fma_f64 v[108:109], v[73:74], s[12:13], -v[110:111]
	v_add_f64 v[42:43], v[65:66], v[42:43]
	v_mul_f64 v[65:66], v[67:68], s[34:35]
	s_mov_b32 s39, 0x3fedeba7
	s_mov_b32 s38, s18
	v_fma_f64 v[126:127], v[73:74], s[26:27], v[106:107]
	v_add_f64 v[77:78], v[79:80], v[112:113]
	v_add_f64 v[46:47], v[46:47], v[96:97]
	;; [unrolled: 1-line block ×3, first 2 shown]
	v_fma_f64 v[104:105], v[73:74], s[10:11], v[71:72]
	v_fma_f64 v[71:72], v[73:74], s[10:11], -v[71:72]
	v_add_f64 v[79:80], v[102:103], v[81:82]
	v_fma_f64 v[106:107], v[73:74], s[12:13], v[110:111]
	v_add_f64 v[100:101], v[108:109], v[100:101]
	v_fma_f64 v[73:74], v[42:43], s[12:13], v[65:66]
	v_fma_f64 v[65:66], v[42:43], s[12:13], -v[65:66]
	v_mul_f64 v[108:109], v[67:68], s[38:39]
	v_add_f64 v[40:41], v[63:64], -v[40:41]
	v_add_f64 v[0:1], v[71:72], v[0:1]
	v_mul_f64 v[71:72], v[67:68], s[14:15]
	v_add_f64 v[98:99], v[106:107], v[120:121]
	v_mul_f64 v[106:107], v[67:68], s[28:29]
	v_add_f64 v[73:74], v[73:74], v[77:78]
	v_add_f64 v[65:66], v[65:66], v[79:80]
	v_fma_f64 v[77:78], v[42:43], s[16:17], v[108:109]
	v_fma_f64 v[79:80], v[42:43], s[16:17], -v[108:109]
	v_mul_f64 v[108:109], v[67:68], s[24:25]
	v_fma_f64 v[63:64], v[42:43], s[10:11], -v[71:72]
	v_add_f64 v[102:103], v[126:127], v[116:117]
	v_mul_f64 v[67:68], v[67:68], s[22:23]
	v_add_f64 v[26:27], v[61:62], v[26:27]
	v_mul_f64 v[61:62], v[40:41], s[18:19]
	v_add_f64 v[75:76], v[104:105], v[75:76]
	v_fma_f64 v[104:105], v[42:43], s[26:27], v[106:107]
	v_fma_f64 v[106:107], v[42:43], s[26:27], -v[106:107]
	v_add_f64 v[46:47], v[79:80], v[46:47]
	v_add_f64 v[63:64], v[63:64], v[96:97]
	v_fma_f64 v[79:80], v[42:43], s[6:7], -v[108:109]
	v_mul_f64 v[96:97], v[40:41], s[36:37]
	v_fma_f64 v[110:111], v[42:43], s[10:11], v[71:72]
	v_add_f64 v[71:72], v[77:78], v[102:103]
	v_fma_f64 v[77:78], v[42:43], s[6:7], v[108:109]
	v_fma_f64 v[102:103], v[42:43], s[20:21], v[67:68]
	v_fma_f64 v[42:43], v[42:43], s[20:21], -v[67:68]
	v_fma_f64 v[67:68], v[26:27], s[16:17], v[61:62]
	v_fma_f64 v[61:62], v[26:27], s[16:17], -v[61:62]
	v_add_f64 v[81:82], v[124:125], v[114:115]
	v_add_f64 v[94:95], v[106:107], v[94:95]
	;; [unrolled: 1-line block ×3, first 2 shown]
	v_fma_f64 v[100:101], v[26:27], s[20:21], v[96:97]
	v_fma_f64 v[96:97], v[26:27], s[20:21], -v[96:97]
	v_add_f64 v[77:78], v[77:78], v[98:99]
	v_mul_f64 v[98:99], v[40:41], s[14:15]
	v_add_f64 v[61:62], v[61:62], v[65:66]
	v_mul_f64 v[65:66], v[40:41], s[34:35]
	s_mov_b32 s35, 0x3fcea1e5
	s_mov_b32 s34, s28
	v_add_f64 v[81:82], v[104:105], v[81:82]
	v_add_f64 v[0:1], v[42:43], v[0:1]
	;; [unrolled: 1-line block ×4, first 2 shown]
	v_mul_f64 v[94:95], v[40:41], s[34:35]
	v_add_f64 v[38:39], v[59:60], -v[38:39]
	s_mov_b32 s37, 0x3fea55e2
	s_mov_b32 s36, s24
	v_add_f64 v[67:68], v[100:101], v[81:82]
	v_fma_f64 v[81:82], v[26:27], s[10:11], -v[98:99]
	v_fma_f64 v[96:97], v[26:27], s[12:13], v[65:66]
	v_fma_f64 v[59:60], v[26:27], s[12:13], -v[65:66]
	v_mul_f64 v[40:41], v[40:41], s[36:37]
	v_fma_f64 v[65:66], v[26:27], s[26:27], v[94:95]
	v_add_f64 v[36:37], v[57:58], v[36:37]
	v_mul_f64 v[57:58], v[38:39], s[22:23]
	v_add_f64 v[69:70], v[69:70], v[118:119]
	v_fma_f64 v[104:105], v[26:27], s[10:11], v[98:99]
	v_add_f64 v[75:76], v[102:103], v[75:76]
	v_add_f64 v[46:47], v[81:82], v[46:47]
	v_fma_f64 v[81:82], v[26:27], s[26:27], -v[94:95]
	v_add_f64 v[59:60], v[59:60], v[63:64]
	v_fma_f64 v[63:64], v[26:27], s[6:7], v[40:41]
	v_mul_f64 v[94:95], v[38:39], s[30:31]
	v_fma_f64 v[26:27], v[26:27], s[6:7], -v[40:41]
	v_add_f64 v[40:41], v[65:66], v[77:78]
	v_fma_f64 v[65:66], v[36:37], s[20:21], v[57:58]
	v_mul_f64 v[77:78], v[38:39], s[24:25]
	v_fma_f64 v[57:58], v[36:37], s[20:21], -v[57:58]
	v_add_f64 v[69:70], v[110:111], v[69:70]
	v_add_f64 v[71:72], v[104:105], v[71:72]
	;; [unrolled: 1-line block ×4, first 2 shown]
	v_fma_f64 v[75:76], v[36:37], s[12:13], v[94:95]
	v_add_f64 v[42:43], v[65:66], v[42:43]
	v_fma_f64 v[65:66], v[36:37], s[6:7], v[77:78]
	v_mul_f64 v[81:82], v[38:39], s[34:35]
	v_add_f64 v[57:58], v[57:58], v[61:62]
	v_fma_f64 v[61:62], v[36:37], s[6:7], -v[77:78]
	v_add_f64 v[32:33], v[32:33], -v[34:35]
	v_add_f64 v[69:70], v[96:97], v[69:70]
	v_add_f64 v[0:1], v[26:27], v[0:1]
	v_fma_f64 v[26:27], v[36:37], s[12:13], -v[94:95]
	v_add_f64 v[67:68], v[75:76], v[67:68]
	v_mul_f64 v[75:76], v[38:39], s[14:15]
	v_add_f64 v[34:35], v[65:66], v[71:72]
	v_fma_f64 v[65:66], v[36:37], s[26:27], v[81:82]
	v_mul_f64 v[38:39], v[38:39], s[18:19]
	v_add_f64 v[46:47], v[61:62], v[46:47]
	v_fma_f64 v[61:62], v[36:37], s[26:27], -v[81:82]
	v_add_f64 v[28:29], v[28:29], v[30:31]
	v_mul_f64 v[30:31], v[32:33], s[28:29]
	v_add_f64 v[26:27], v[26:27], v[73:74]
	v_fma_f64 v[71:72], v[36:37], s[10:11], v[75:76]
	v_fma_f64 v[73:74], v[36:37], s[10:11], -v[75:76]
	v_add_f64 v[65:66], v[65:66], v[69:70]
	v_fma_f64 v[69:70], v[36:37], s[16:17], v[38:39]
	v_mul_f64 v[75:76], v[32:33], s[14:15]
	v_fma_f64 v[36:37], v[36:37], s[16:17], -v[38:39]
	v_add_f64 v[38:39], v[61:62], v[59:60]
	v_fma_f64 v[59:60], v[28:29], s[26:27], v[30:31]
	v_fma_f64 v[30:31], v[28:29], s[26:27], -v[30:31]
	v_add_f64 v[40:41], v[71:72], v[40:41]
	v_mul_f64 v[71:72], v[32:33], s[22:23]
	v_add_f64 v[63:64], v[69:70], v[63:64]
	v_fma_f64 v[69:70], v[28:29], s[10:11], v[75:76]
	v_add_f64 v[0:1], v[36:37], v[0:1]
	v_fma_f64 v[36:37], v[28:29], s[10:11], -v[75:76]
	v_add_f64 v[42:43], v[59:60], v[42:43]
	v_mul_f64 v[59:60], v[32:33], s[36:37]
	v_add_f64 v[30:31], v[30:31], v[57:58]
	v_mul_f64 v[57:58], v[32:33], s[18:19]
	v_mul_f64 v[32:33], v[32:33], s[30:31]
	v_add_f64 v[61:62], v[73:74], v[79:80]
	v_add_f64 v[67:68], v[69:70], v[67:68]
	;; [unrolled: 1-line block ×3, first 2 shown]
	v_fma_f64 v[36:37], v[28:29], s[20:21], v[71:72]
	v_fma_f64 v[69:70], v[28:29], s[20:21], -v[71:72]
	v_fma_f64 v[71:72], v[28:29], s[6:7], v[59:60]
	v_fma_f64 v[73:74], v[28:29], s[16:17], v[57:58]
	v_fma_f64 v[59:60], v[28:29], s[6:7], -v[59:60]
	v_fma_f64 v[57:58], v[28:29], s[16:17], -v[57:58]
	v_fma_f64 v[75:76], v[28:29], s[12:13], v[32:33]
	v_fma_f64 v[28:29], v[28:29], s[12:13], -v[32:33]
	v_add_f64 v[32:33], v[36:37], v[34:35]
	v_add_f64 v[34:35], v[69:70], v[46:47]
	;; [unrolled: 1-line block ×8, first 2 shown]
	v_mov_b32_e32 v29, 3
	v_mul_u32_u24_e32 v28, 0x4e0, v53
	v_lshlrev_b32_sdwa v29, v29, v90 dst_sel:DWORD dst_unused:UNUSED_PAD src0_sel:DWORD src1_sel:BYTE_0
	v_add3_u32 v28, 0, v28, v29
	ds_write2_b64 v28, v[44:45], v[42:43] offset1:12
	ds_write2_b64 v28, v[67:68], v[32:33] offset0:24 offset1:36
	ds_write2_b64 v28, v[36:37], v[40:41] offset0:48 offset1:60
	;; [unrolled: 1-line block ×5, first 2 shown]
	ds_write_b64 v28, v[30:31] offset:1152
.LBB0_19:
	s_or_b64 exec, exec, s[4:5]
	v_mov_b32_e32 v53, 0
	v_lshlrev_b64 v[0:1], 4, v[52:53]
	v_mov_b32_e32 v36, s9
	v_add_co_u32_e32 v26, vcc, s8, v0
	v_addc_co_u32_e32 v27, vcc, v36, v1, vcc
	v_subrev_u32_e32 v0, 39, v48
	v_cmp_gt_u32_e32 vcc, 39, v48
	v_cndmask_b32_e32 v90, v0, v88, vcc
	v_lshlrev_b32_e32 v52, 1, v90
	v_lshlrev_b64 v[0:1], 4, v[52:53]
	s_waitcnt lgkmcnt(0)
	v_add_co_u32_e32 v0, vcc, s8, v0
	v_addc_co_u32_e32 v1, vcc, v36, v1, vcc
	s_barrier
	global_load_dwordx4 v[28:31], v[26:27], off offset:2480
	global_load_dwordx4 v[32:35], v[26:27], off offset:2464
	global_load_dwordx4 v[36:39], v[0:1], off offset:2480
	global_load_dwordx4 v[40:43], v[0:1], off offset:2464
	v_lshrrev_b16_e32 v0, 2, v89
	v_mul_u32_u24_e32 v0, 0xd21, v0
	v_lshrrev_b32_e32 v52, 17, v0
	v_mul_lo_u16_e32 v0, 0x9c, v52
	v_sub_u16_e32 v116, v89, v0
	v_lshlrev_b32_e32 v0, 5, v116
	global_load_dwordx4 v[44:47], v0, s[8:9] offset:2480
	global_load_dwordx4 v[57:60], v0, s[8:9] offset:2464
	v_lshrrev_b16_e32 v0, 2, v85
	v_mul_u32_u24_e32 v0, 0xd21, v0
	v_lshrrev_b32_e32 v0, 17, v0
	v_mul_lo_u16_e32 v0, 0x9c, v0
	v_sub_u16_e32 v117, v85, v0
	v_lshlrev_b32_e32 v0, 5, v117
	global_load_dwordx4 v[61:64], v0, s[8:9] offset:2464
	global_load_dwordx4 v[65:68], v0, s[8:9] offset:2480
	ds_read2_b64 v[69:72], v49 offset1:117
	ds_read2_b64 v[73:76], v83 offset0:84 offset1:201
	ds_read2_b64 v[77:80], v84 offset0:40 offset1:157
	;; [unrolled: 1-line block ×5, first 2 shown]
	s_mov_b32 s4, 0xe8584caa
	s_mov_b32 s5, 0x3febb67a
	s_mov_b32 s7, 0xbfebb67a
	s_mov_b32 s6, s4
	s_waitcnt vmcnt(0) lgkmcnt(0)
	s_barrier
	v_cmp_lt_u32_e32 vcc, 38, v48
	v_mul_f64 v[81:82], v[77:78], v[30:31]
	v_mul_f64 v[0:1], v[73:74], v[34:35]
	;; [unrolled: 1-line block ×12, first 2 shown]
	v_fma_f64 v[0:1], v[18:19], v[32:33], -v[0:1]
	v_fma_f64 v[18:19], v[73:74], v[32:33], v[34:35]
	v_fma_f64 v[22:23], v[22:23], v[28:29], -v[81:82]
	v_mul_f64 v[112:113], v[100:101], v[63:64]
	v_mul_f64 v[63:64], v[12:13], v[63:64]
	;; [unrolled: 1-line block ×4, first 2 shown]
	v_fma_f64 v[28:29], v[77:78], v[28:29], v[30:31]
	v_fma_f64 v[30:31], v[75:76], v[40:41], v[42:43]
	;; [unrolled: 1-line block ×3, first 2 shown]
	v_fma_f64 v[20:21], v[20:21], v[40:41], -v[88:89]
	v_fma_f64 v[24:25], v[24:25], v[36:37], -v[106:107]
	;; [unrolled: 1-line block ×4, first 2 shown]
	v_fma_f64 v[34:35], v[98:99], v[57:58], v[59:60]
	v_fma_f64 v[36:37], v[102:103], v[44:45], v[46:47]
	v_fma_f64 v[12:13], v[12:13], v[61:62], -v[112:113]
	v_fma_f64 v[38:39], v[100:101], v[61:62], v[63:64]
	v_fma_f64 v[16:17], v[16:17], v[65:66], -v[114:115]
	v_fma_f64 v[40:41], v[104:105], v[65:66], v[67:68]
	v_add_f64 v[63:64], v[30:31], -v[32:33]
	v_add_f64 v[65:66], v[71:72], v[30:31]
	v_add_f64 v[30:31], v[30:31], v[32:33]
	;; [unrolled: 1-line block ×3, first 2 shown]
	v_add_f64 v[46:47], v[18:19], -v[28:29]
	v_add_f64 v[57:58], v[69:70], v[18:19]
	v_add_f64 v[18:19], v[18:19], v[28:29]
	;; [unrolled: 1-line block ×6, first 2 shown]
	v_add_f64 v[20:21], v[20:21], -v[24:25]
	v_add_f64 v[67:68], v[2:3], v[10:11]
	v_add_f64 v[77:78], v[34:35], v[36:37]
	;; [unrolled: 1-line block ×3, first 2 shown]
	v_fma_f64 v[30:31], v[30:31], -0.5, v[71:72]
	v_fma_f64 v[6:7], v[44:45], -0.5, v[6:7]
	v_add_f64 v[0:1], v[0:1], -v[22:23]
	v_fma_f64 v[18:19], v[18:19], -0.5, v[69:70]
	v_fma_f64 v[8:9], v[61:62], -0.5, v[8:9]
	v_add_f64 v[75:76], v[34:35], -v[36:37]
	v_fma_f64 v[2:3], v[73:74], -0.5, v[2:3]
	v_add_f64 v[81:82], v[38:39], v[40:41]
	v_add_f64 v[22:23], v[42:43], v[22:23]
	;; [unrolled: 1-line block ×4, first 2 shown]
	v_fma_f64 v[59:60], v[20:21], s[6:7], v[30:31]
	v_fma_f64 v[30:31], v[20:21], s[4:5], v[30:31]
	v_add_f64 v[20:21], v[94:95], v[34:35]
	v_fma_f64 v[34:35], v[77:78], -0.5, v[94:95]
	v_add_f64 v[10:11], v[10:11], -v[14:15]
	v_add_f64 v[14:15], v[4:5], v[12:13]
	v_fma_f64 v[4:5], v[79:80], -0.5, v[4:5]
	v_add_f64 v[61:62], v[38:39], -v[40:41]
	v_fma_f64 v[44:45], v[46:47], s[4:5], v[6:7]
	v_fma_f64 v[6:7], v[46:47], s[6:7], v[6:7]
	v_add_f64 v[28:29], v[57:58], v[28:29]
	v_fma_f64 v[46:47], v[0:1], s[6:7], v[18:19]
	v_fma_f64 v[57:58], v[0:1], s[4:5], v[18:19]
	;; [unrolled: 1-line block ×5, first 2 shown]
	v_add_f64 v[32:33], v[65:66], v[32:33]
	v_fma_f64 v[2:3], v[75:76], s[6:7], v[2:3]
	v_add_f64 v[38:39], v[96:97], v[38:39]
	v_fma_f64 v[63:64], v[81:82], -0.5, v[96:97]
	v_add_f64 v[12:13], v[12:13], -v[16:17]
	v_fma_f64 v[65:66], v[10:11], s[6:7], v[34:35]
	v_fma_f64 v[34:35], v[10:11], s[4:5], v[34:35]
	v_add_f64 v[10:11], v[14:15], v[16:17]
	v_fma_f64 v[14:15], v[61:62], s[4:5], v[4:5]
	v_fma_f64 v[4:5], v[61:62], s[6:7], v[4:5]
	ds_write2_b64 v49, v[22:23], v[44:45] offset1:156
	ds_write_b64 v49, v[6:7] offset:2496
	v_mov_b32_e32 v6, 0xea0
	v_cndmask_b32_e32 v6, 0, v6, vcc
	v_lshlrev_b32_e32 v7, 3, v90
	v_add3_u32 v44, 0, v6, v7
	ds_write2_b64 v44, v[24:25], v[0:1] offset1:156
	ds_write_b64 v44, v[8:9] offset:2496
	v_mul_u32_u24_e32 v0, 0xea0, v52
	v_lshlrev_b32_e32 v1, 3, v116
	v_add3_u32 v24, 0, v0, v1
	v_lshl_add_u32 v25, v117, 3, 0
	ds_write2_b64 v24, v[42:43], v[18:19] offset1:156
	ds_write_b64 v24, v[2:3] offset:2496
	v_add_u32_e32 v42, 0x1c00, v25
	v_add_f64 v[36:37], v[20:21], v[36:37]
	v_add_f64 v[38:39], v[38:39], v[40:41]
	v_fma_f64 v[40:41], v[12:13], s[6:7], v[63:64]
	v_fma_f64 v[61:62], v[12:13], s[4:5], v[63:64]
	ds_write2_b64 v42, v[10:11], v[14:15] offset0:40 offset1:196
	ds_write_b64 v25, v[4:5] offset:9984
	s_waitcnt lgkmcnt(0)
	s_barrier
	ds_read2_b64 v[0:3], v49 offset1:117
	ds_read2_b64 v[4:7], v83 offset0:84 offset1:201
	ds_read2_b64 v[8:11], v84 offset0:40 offset1:157
	;; [unrolled: 1-line block ×5, first 2 shown]
	s_waitcnt lgkmcnt(0)
	s_barrier
	ds_write2_b64 v49, v[28:29], v[46:47] offset1:156
	ds_write_b64 v49, v[57:58] offset:2496
	ds_write2_b64 v44, v[32:33], v[59:60] offset1:156
	ds_write_b64 v44, v[30:31] offset:2496
	;; [unrolled: 2-line block ×3, first 2 shown]
	ds_write2_b64 v42, v[38:39], v[40:41] offset0:40 offset1:196
	ds_write_b64 v25, v[61:62] offset:9984
	s_waitcnt lgkmcnt(0)
	s_barrier
	s_and_saveexec_b64 s[10:11], s[0:1]
	s_cbranch_execz .LBB0_21
; %bb.20:
	v_mov_b32_e32 v57, v53
	v_lshlrev_b64 v[24:25], 4, v[56:57]
	v_mov_b32_e32 v40, s9
	v_add_co_u32_e32 v28, vcc, s8, v24
	v_addc_co_u32_e32 v52, vcc, v40, v25, vcc
	v_add_co_u32_e32 v24, vcc, 0x1d20, v28
	v_addc_co_u32_e32 v25, vcc, 0, v52, vcc
	v_mov_b32_e32 v56, v53
	v_add_co_u32_e32 v58, vcc, 0x1000, v28
	v_lshlrev_b64 v[28:29], 4, v[55:56]
	s_movk_i32 s10, 0x1d20
	v_add_co_u32_e64 v28, s[0:1], s8, v28
	v_addc_co_u32_e64 v29, s[0:1], v40, v29, s[0:1]
	v_add_co_u32_e64 v36, s[0:1], s10, v28
	s_movk_i32 s9, 0x1000
	v_addc_co_u32_e64 v37, s[0:1], 0, v29, s[0:1]
	v_add_co_u32_e64 v38, s[0:1], s9, v28
	v_addc_co_u32_e64 v39, s[0:1], 0, v29, s[0:1]
	v_mov_b32_e32 v55, v53
	global_load_dwordx4 v[28:31], v[38:39], off offset:3360
	global_load_dwordx4 v[32:35], v[36:37], off offset:16
	v_lshlrev_b64 v[36:37], 4, v[54:55]
	v_addc_co_u32_e32 v59, vcc, 0, v52, vcc
	v_add_co_u32_e64 v36, s[0:1], s8, v36
	v_addc_co_u32_e64 v37, s[0:1], v40, v37, s[0:1]
	v_add_co_u32_e64 v44, s[0:1], s10, v36
	v_addc_co_u32_e64 v45, s[0:1], 0, v37, s[0:1]
	;; [unrolled: 2-line block ×3, first 2 shown]
	global_load_dwordx4 v[36:39], v[46:47], off offset:3360
	global_load_dwordx4 v[40:43], v[44:45], off offset:16
	s_nop 0
	global_load_dwordx4 v[44:47], v[58:59], off offset:3360
	global_load_dwordx4 v[54:57], v[24:25], off offset:16
	v_add_co_u32_e32 v62, vcc, s10, v26
	v_addc_co_u32_e32 v63, vcc, 0, v27, vcc
	v_add_co_u32_e32 v64, vcc, s9, v26
	v_addc_co_u32_e32 v65, vcc, 0, v27, vcc
	global_load_dwordx4 v[24:27], v[64:65], off offset:3360
	global_load_dwordx4 v[58:61], v[62:63], off offset:16
	v_add_u32_e32 v52, 0x1400, v49
	v_add_u32_e32 v66, 0x2400, v49
	;; [unrolled: 1-line block ×5, first 2 shown]
	ds_read2_b64 v[62:65], v52 offset0:62 offset1:179
	ds_read2_b64 v[66:69], v66 offset0:18 offset1:135
	ds_read2_b64 v[70:73], v70 offset0:106 offset1:223
	ds_read2_b64 v[74:77], v74 offset0:84 offset1:201
	ds_read2_b64 v[78:81], v78 offset0:40 offset1:157
	v_add_co_u32_e32 v50, vcc, s2, v50
	s_movk_i32 s0, 0x3000
	s_mov_b32 s2, 0x46046047
	s_movk_i32 s1, 0x4000
	s_waitcnt vmcnt(7) lgkmcnt(4)
	v_mul_f64 v[82:83], v[62:63], v[30:31]
	s_waitcnt vmcnt(6) lgkmcnt(3)
	v_mul_f64 v[88:89], v[66:67], v[34:35]
	v_mul_f64 v[30:31], v[16:17], v[30:31]
	;; [unrolled: 1-line block ×3, first 2 shown]
	v_fma_f64 v[82:83], v[16:17], v[28:29], -v[82:83]
	v_fma_f64 v[88:89], v[20:21], v[32:33], -v[88:89]
	v_fma_f64 v[16:17], v[28:29], v[62:63], v[30:31]
	v_fma_f64 v[20:21], v[32:33], v[66:67], v[34:35]
	s_waitcnt vmcnt(5) lgkmcnt(1)
	v_mul_f64 v[90:91], v[76:77], v[38:39]
	s_waitcnt vmcnt(3)
	v_mul_f64 v[94:95], v[64:65], v[46:47]
	s_waitcnt vmcnt(2)
	v_mul_f64 v[96:97], v[68:69], v[56:57]
	v_mul_f64 v[46:47], v[18:19], v[46:47]
	v_mul_f64 v[56:57], v[22:23], v[56:57]
	v_mul_f64 v[38:39], v[6:7], v[38:39]
	v_add_f64 v[32:33], v[16:17], v[20:21]
	v_add_f64 v[34:35], v[16:17], v[70:71]
	v_fma_f64 v[62:63], v[6:7], v[36:37], -v[90:91]
	v_fma_f64 v[18:19], v[18:19], v[44:45], -v[94:95]
	;; [unrolled: 1-line block ×3, first 2 shown]
	v_fma_f64 v[6:7], v[44:45], v[64:65], v[46:47]
	v_fma_f64 v[28:29], v[54:55], v[68:69], v[56:57]
	v_add_f64 v[44:45], v[16:17], -v[20:21]
	s_waitcnt lgkmcnt(0)
	v_mul_f64 v[92:93], v[80:81], v[42:43]
	v_mul_f64 v[42:43], v[10:11], v[42:43]
	v_fma_f64 v[66:67], v[36:37], v[76:77], v[38:39]
	v_add_f64 v[30:31], v[82:83], -v[88:89]
	v_add_f64 v[16:17], v[18:19], v[22:23]
	v_add_f64 v[46:47], v[18:19], -v[22:23]
	v_add_f64 v[38:39], v[6:7], v[28:29]
	v_add_f64 v[54:55], v[6:7], v[72:73]
	;; [unrolled: 1-line block ×3, first 2 shown]
	v_fma_f64 v[32:33], v[32:33], -0.5, v[70:71]
	v_add_f64 v[56:57], v[6:7], -v[28:29]
	v_add_f64 v[6:7], v[20:21], v[34:35]
	v_fma_f64 v[34:35], v[16:17], -0.5, v[14:15]
	v_fma_f64 v[42:43], v[40:41], v[80:81], v[42:43]
	v_add_f64 v[36:37], v[82:83], v[88:89]
	v_fma_f64 v[38:39], v[38:39], -0.5, v[72:73]
	v_add_f64 v[16:17], v[28:29], v[54:55]
	v_add_f64 v[14:15], v[18:19], v[22:23]
	v_fma_f64 v[20:21], v[30:31], s[4:5], v[32:33]
	v_fma_f64 v[28:29], v[30:31], s[6:7], v[32:33]
	;; [unrolled: 1-line block ×4, first 2 shown]
	s_waitcnt vmcnt(1)
	v_mul_f64 v[22:23], v[4:5], v[26:27]
	s_waitcnt vmcnt(0)
	v_mul_f64 v[54:55], v[8:9], v[60:61]
	v_mul_f64 v[26:27], v[74:75], v[26:27]
	;; [unrolled: 1-line block ×3, first 2 shown]
	v_fma_f64 v[64:65], v[36:37], -0.5, v[12:13]
	v_fma_f64 v[32:33], v[46:47], s[4:5], v[38:39]
	v_fma_f64 v[36:37], v[46:47], s[6:7], v[38:39]
	v_fma_f64 v[46:47], v[10:11], v[40:41], -v[92:93]
	v_add_f64 v[10:11], v[66:67], v[42:43]
	v_add_f64 v[12:13], v[12:13], v[82:83]
	v_fma_f64 v[22:23], v[24:25], v[74:75], v[22:23]
	v_fma_f64 v[54:55], v[58:59], v[78:79], v[54:55]
	v_fma_f64 v[70:71], v[4:5], v[24:25], -v[26:27]
	v_fma_f64 v[58:59], v[8:9], v[58:59], -v[56:57]
	ds_read2_b64 v[38:41], v49 offset1:117
	v_fma_f64 v[18:19], v[44:45], s[6:7], v[64:65]
	v_add_f64 v[60:61], v[62:63], -v[46:47]
	v_add_f64 v[8:9], v[62:63], v[46:47]
	v_fma_f64 v[26:27], v[44:45], s[4:5], v[64:65]
	s_waitcnt lgkmcnt(0)
	v_fma_f64 v[68:69], v[10:11], -0.5, v[40:41]
	v_add_f64 v[40:41], v[66:67], v[40:41]
	v_add_f64 v[4:5], v[12:13], v[88:89]
	;; [unrolled: 1-line block ×4, first 2 shown]
	v_mov_b32_e32 v49, v53
	v_fma_f64 v[56:57], v[8:9], -0.5, v[2:3]
	v_add_f64 v[2:3], v[2:3], v[62:63]
	v_fma_f64 v[10:11], v[60:61], s[4:5], v[68:69]
	v_fma_f64 v[24:25], v[60:61], s[6:7], v[68:69]
	v_add_f64 v[60:61], v[66:67], -v[42:43]
	v_add_f64 v[40:41], v[42:43], v[40:41]
	v_add_f64 v[42:43], v[70:71], -v[58:59]
	v_fma_f64 v[12:13], v[12:13], -0.5, v[38:39]
	v_fma_f64 v[64:65], v[44:45], -0.5, v[0:1]
	v_add_f64 v[66:67], v[22:23], -v[54:55]
	v_add_f64 v[62:63], v[22:23], v[38:39]
	v_add_f64 v[68:69], v[0:1], v[70:71]
	;; [unrolled: 1-line block ×3, first 2 shown]
	v_fma_f64 v[8:9], v[60:61], s[6:7], v[56:57]
	v_fma_f64 v[22:23], v[60:61], s[4:5], v[56:57]
	;; [unrolled: 1-line block ×5, first 2 shown]
	v_mov_b32_e32 v12, s3
	v_add_f64 v[56:57], v[62:63], v[54:55]
	v_fma_f64 v[0:1], v[66:67], s[6:7], v[64:65]
	v_add_f64 v[54:55], v[68:69], v[58:59]
	v_addc_co_u32_e32 v51, vcc, v12, v51, vcc
	v_lshlrev_b64 v[12:13], 4, v[48:49]
	s_movk_i32 s3, 0x3a8
	v_add_co_u32_e32 v12, vcc, v50, v12
	v_addc_co_u32_e32 v13, vcc, v51, v13, vcc
	v_add_co_u32_e32 v46, vcc, s9, v12
	v_addc_co_u32_e32 v47, vcc, 0, v13, vcc
	global_store_dwordx4 v[46:47], v[42:45], off offset:3392
	global_store_dwordx4 v[12:13], v[54:57], off
	v_add_co_u32_e32 v42, vcc, s0, v12
	v_addc_co_u32_e32 v43, vcc, 0, v13, vcc
	s_movk_i32 s0, 0x2000
	global_store_dwordx4 v[42:43], v[0:3], off offset:2688
	global_store_dwordx4 v[12:13], v[38:41], off offset:1872
	v_add_co_u32_e32 v0, vcc, s0, v12
	v_mul_hi_u32 v2, v87, s2
	v_addc_co_u32_e32 v1, vcc, 0, v13, vcc
	global_store_dwordx4 v[0:1], v[22:25], off offset:1168
	v_add_co_u32_e32 v0, vcc, s1, v12
	v_addc_co_u32_e32 v1, vcc, 0, v13, vcc
	global_store_dwordx4 v[0:1], v[8:11], off offset:464
	v_lshrrev_b32_e32 v0, 5, v2
	v_mul_u32_u24_e32 v52, 0x3a8, v0
	v_lshlrev_b64 v[0:1], 4, v[52:53]
	v_add_co_u32_e32 v0, vcc, v12, v0
	v_addc_co_u32_e32 v1, vcc, v13, v1, vcc
	v_add_co_u32_e32 v2, vcc, s0, v0
	v_addc_co_u32_e32 v3, vcc, 0, v1, vcc
	global_store_dwordx4 v[2:3], v[26:29], off offset:3040
	v_mul_hi_u32 v2, v86, s2
	global_store_dwordx4 v[0:1], v[4:7], off offset:3744
	v_add_co_u32_e32 v0, vcc, s1, v0
	v_addc_co_u32_e32 v1, vcc, 0, v1, vcc
	global_store_dwordx4 v[0:1], v[18:21], off offset:2336
	v_lshrrev_b32_e32 v0, 5, v2
	v_mad_u32_u24 v52, v0, s3, v85
	v_lshlrev_b64 v[0:1], 4, v[52:53]
	v_add_co_u32_e32 v0, vcc, v50, v0
	v_addc_co_u32_e32 v1, vcc, v51, v1, vcc
	v_add_co_u32_e32 v2, vcc, 0x1000, v0
	v_addc_co_u32_e32 v3, vcc, 0, v1, vcc
	global_store_dwordx4 v[0:1], v[14:17], off
	v_add_co_u32_e32 v0, vcc, 0x3000, v0
	v_addc_co_u32_e32 v1, vcc, 0, v1, vcc
	global_store_dwordx4 v[2:3], v[34:37], off offset:3392
	global_store_dwordx4 v[0:1], v[30:33], off offset:2688
.LBB0_21:
	s_endpgm
	.section	.rodata,"a",@progbits
	.p2align	6, 0x0
	.amdhsa_kernel fft_rtc_fwd_len1404_factors_2_2_3_13_3_3_wgs_117_tpt_117_halfLds_dp_ip_CI_unitstride_sbrr_dirReg
		.amdhsa_group_segment_fixed_size 0
		.amdhsa_private_segment_fixed_size 0
		.amdhsa_kernarg_size 88
		.amdhsa_user_sgpr_count 6
		.amdhsa_user_sgpr_private_segment_buffer 1
		.amdhsa_user_sgpr_dispatch_ptr 0
		.amdhsa_user_sgpr_queue_ptr 0
		.amdhsa_user_sgpr_kernarg_segment_ptr 1
		.amdhsa_user_sgpr_dispatch_id 0
		.amdhsa_user_sgpr_flat_scratch_init 0
		.amdhsa_user_sgpr_private_segment_size 0
		.amdhsa_uses_dynamic_stack 0
		.amdhsa_system_sgpr_private_segment_wavefront_offset 0
		.amdhsa_system_sgpr_workgroup_id_x 1
		.amdhsa_system_sgpr_workgroup_id_y 0
		.amdhsa_system_sgpr_workgroup_id_z 0
		.amdhsa_system_sgpr_workgroup_info 0
		.amdhsa_system_vgpr_workitem_id 0
		.amdhsa_next_free_vgpr 145
		.amdhsa_next_free_sgpr 42
		.amdhsa_reserve_vcc 1
		.amdhsa_reserve_flat_scratch 0
		.amdhsa_float_round_mode_32 0
		.amdhsa_float_round_mode_16_64 0
		.amdhsa_float_denorm_mode_32 3
		.amdhsa_float_denorm_mode_16_64 3
		.amdhsa_dx10_clamp 1
		.amdhsa_ieee_mode 1
		.amdhsa_fp16_overflow 0
		.amdhsa_exception_fp_ieee_invalid_op 0
		.amdhsa_exception_fp_denorm_src 0
		.amdhsa_exception_fp_ieee_div_zero 0
		.amdhsa_exception_fp_ieee_overflow 0
		.amdhsa_exception_fp_ieee_underflow 0
		.amdhsa_exception_fp_ieee_inexact 0
		.amdhsa_exception_int_div_zero 0
	.end_amdhsa_kernel
	.text
.Lfunc_end0:
	.size	fft_rtc_fwd_len1404_factors_2_2_3_13_3_3_wgs_117_tpt_117_halfLds_dp_ip_CI_unitstride_sbrr_dirReg, .Lfunc_end0-fft_rtc_fwd_len1404_factors_2_2_3_13_3_3_wgs_117_tpt_117_halfLds_dp_ip_CI_unitstride_sbrr_dirReg
                                        ; -- End function
	.section	.AMDGPU.csdata,"",@progbits
; Kernel info:
; codeLenInByte = 11244
; NumSgprs: 46
; NumVgprs: 145
; ScratchSize: 0
; MemoryBound: 1
; FloatMode: 240
; IeeeMode: 1
; LDSByteSize: 0 bytes/workgroup (compile time only)
; SGPRBlocks: 5
; VGPRBlocks: 36
; NumSGPRsForWavesPerEU: 46
; NumVGPRsForWavesPerEU: 145
; Occupancy: 1
; WaveLimiterHint : 1
; COMPUTE_PGM_RSRC2:SCRATCH_EN: 0
; COMPUTE_PGM_RSRC2:USER_SGPR: 6
; COMPUTE_PGM_RSRC2:TRAP_HANDLER: 0
; COMPUTE_PGM_RSRC2:TGID_X_EN: 1
; COMPUTE_PGM_RSRC2:TGID_Y_EN: 0
; COMPUTE_PGM_RSRC2:TGID_Z_EN: 0
; COMPUTE_PGM_RSRC2:TIDIG_COMP_CNT: 0
	.type	__hip_cuid_ed96aa84107d5916,@object ; @__hip_cuid_ed96aa84107d5916
	.section	.bss,"aw",@nobits
	.globl	__hip_cuid_ed96aa84107d5916
__hip_cuid_ed96aa84107d5916:
	.byte	0                               ; 0x0
	.size	__hip_cuid_ed96aa84107d5916, 1

	.ident	"AMD clang version 19.0.0git (https://github.com/RadeonOpenCompute/llvm-project roc-6.4.0 25133 c7fe45cf4b819c5991fe208aaa96edf142730f1d)"
	.section	".note.GNU-stack","",@progbits
	.addrsig
	.addrsig_sym __hip_cuid_ed96aa84107d5916
	.amdgpu_metadata
---
amdhsa.kernels:
  - .args:
      - .actual_access:  read_only
        .address_space:  global
        .offset:         0
        .size:           8
        .value_kind:     global_buffer
      - .offset:         8
        .size:           8
        .value_kind:     by_value
      - .actual_access:  read_only
        .address_space:  global
        .offset:         16
        .size:           8
        .value_kind:     global_buffer
      - .actual_access:  read_only
        .address_space:  global
        .offset:         24
        .size:           8
        .value_kind:     global_buffer
      - .offset:         32
        .size:           8
        .value_kind:     by_value
      - .actual_access:  read_only
        .address_space:  global
        .offset:         40
        .size:           8
        .value_kind:     global_buffer
      - .actual_access:  read_only
        .address_space:  global
        .offset:         48
        .size:           8
        .value_kind:     global_buffer
      - .offset:         56
        .size:           4
        .value_kind:     by_value
      - .actual_access:  read_only
        .address_space:  global
        .offset:         64
        .size:           8
        .value_kind:     global_buffer
      - .actual_access:  read_only
        .address_space:  global
        .offset:         72
        .size:           8
        .value_kind:     global_buffer
      - .address_space:  global
        .offset:         80
        .size:           8
        .value_kind:     global_buffer
    .group_segment_fixed_size: 0
    .kernarg_segment_align: 8
    .kernarg_segment_size: 88
    .language:       OpenCL C
    .language_version:
      - 2
      - 0
    .max_flat_workgroup_size: 117
    .name:           fft_rtc_fwd_len1404_factors_2_2_3_13_3_3_wgs_117_tpt_117_halfLds_dp_ip_CI_unitstride_sbrr_dirReg
    .private_segment_fixed_size: 0
    .sgpr_count:     46
    .sgpr_spill_count: 0
    .symbol:         fft_rtc_fwd_len1404_factors_2_2_3_13_3_3_wgs_117_tpt_117_halfLds_dp_ip_CI_unitstride_sbrr_dirReg.kd
    .uniform_work_group_size: 1
    .uses_dynamic_stack: false
    .vgpr_count:     145
    .vgpr_spill_count: 0
    .wavefront_size: 64
amdhsa.target:   amdgcn-amd-amdhsa--gfx906
amdhsa.version:
  - 1
  - 2
...

	.end_amdgpu_metadata
